;; amdgpu-corpus repo=ROCm/rocFFT kind=compiled arch=gfx906 opt=O3
	.text
	.amdgcn_target "amdgcn-amd-amdhsa--gfx906"
	.amdhsa_code_object_version 6
	.protected	bluestein_single_fwd_len1125_dim1_sp_op_CI_CI ; -- Begin function bluestein_single_fwd_len1125_dim1_sp_op_CI_CI
	.globl	bluestein_single_fwd_len1125_dim1_sp_op_CI_CI
	.p2align	8
	.type	bluestein_single_fwd_len1125_dim1_sp_op_CI_CI,@function
bluestein_single_fwd_len1125_dim1_sp_op_CI_CI: ; @bluestein_single_fwd_len1125_dim1_sp_op_CI_CI
; %bb.0:
	s_load_dwordx4 s[8:11], s[4:5], 0x28
	v_mul_u32_u24_e32 v1, 0x124, v0
	v_add_u32_sdwa v32, s6, v1 dst_sel:DWORD dst_unused:UNUSED_PAD src0_sel:DWORD src1_sel:WORD_1
	v_mov_b32_e32 v33, 0
	s_waitcnt lgkmcnt(0)
	v_cmp_gt_u64_e32 vcc, s[8:9], v[32:33]
	s_and_saveexec_b64 s[0:1], vcc
	s_cbranch_execz .LBB0_18
; %bb.1:
	s_load_dwordx4 s[0:3], s[4:5], 0x18
	s_load_dwordx4 s[12:15], s[4:5], 0x0
	s_movk_i32 s8, 0x1000
	s_load_dwordx2 s[4:5], s[4:5], 0x38
	s_waitcnt lgkmcnt(0)
	s_load_dwordx4 s[16:19], s[0:1], 0x0
	s_movk_i32 s0, 0xe1
	v_mul_lo_u16_sdwa v1, v1, s0 dst_sel:DWORD dst_unused:UNUSED_PAD src0_sel:WORD_1 src1_sel:DWORD
	v_sub_u16_e32 v48, v0, v1
	v_lshlrev_b32_e32 v47, 3, v48
	s_waitcnt lgkmcnt(0)
	v_mad_u64_u32 v[0:1], s[0:1], s18, v32, 0
	v_mad_u64_u32 v[2:3], s[0:1], s16, v48, 0
	s_mul_i32 s6, s17, 0x708
	s_mul_hi_u32 s7, s16, 0x708
	v_mad_u64_u32 v[4:5], s[0:1], s19, v32, v[1:2]
	s_add_i32 s6, s7, s6
	s_mul_i32 s7, s16, 0x708
	v_mad_u64_u32 v[5:6], s[0:1], s17, v48, v[3:4]
	v_mov_b32_e32 v1, v4
	v_lshlrev_b64 v[0:1], 3, v[0:1]
	v_mov_b32_e32 v6, s11
	v_mov_b32_e32 v3, v5
	v_add_co_u32_e32 v4, vcc, s10, v0
	v_addc_co_u32_e32 v5, vcc, v6, v1, vcc
	v_lshlrev_b64 v[0:1], 3, v[2:3]
	v_add_co_u32_e64 v49, s[0:1], s12, v47
	v_add_co_u32_e32 v0, vcc, v4, v0
	v_mov_b32_e32 v4, s13
	v_addc_co_u32_e32 v1, vcc, v5, v1, vcc
	v_addc_co_u32_e64 v14, vcc, 0, v4, s[0:1]
	global_load_dwordx2 v[2:3], v[0:1], off
	v_mov_b32_e32 v4, s6
	v_add_co_u32_e32 v0, vcc, s7, v0
	v_addc_co_u32_e32 v1, vcc, v1, v4, vcc
	v_mov_b32_e32 v5, s6
	v_add_co_u32_e32 v4, vcc, s7, v0
	v_addc_co_u32_e32 v5, vcc, v1, v5, vcc
	;; [unrolled: 3-line block ×3, first 2 shown]
	global_load_dwordx2 v[41:42], v47, s[12:13]
	global_load_dwordx2 v[39:40], v47, s[12:13] offset:1800
	global_load_dwordx2 v[37:38], v47, s[12:13] offset:3600
	global_load_dwordx2 v[8:9], v[0:1], off
	global_load_dwordx2 v[10:11], v[4:5], off
	;; [unrolled: 1-line block ×3, first 2 shown]
	v_add_co_u32_e32 v0, vcc, s8, v49
	v_addc_co_u32_e32 v1, vcc, 0, v14, vcc
	v_mov_b32_e32 v5, s6
	v_add_co_u32_e32 v4, vcc, s7, v6
	global_load_dwordx2 v[35:36], v[0:1], off offset:1304
	v_addc_co_u32_e32 v5, vcc, v7, v5, vcc
	global_load_dwordx2 v[33:34], v[0:1], off offset:3104
	global_load_dwordx2 v[6:7], v[4:5], off
	v_add_u32_e32 v14, 0xe00, v47
	s_load_dwordx4 s[8:11], s[2:3], 0x0
	s_movk_i32 s2, 0xcd
	s_waitcnt vmcnt(8)
	v_mul_f32_e32 v0, v3, v42
	v_mul_f32_e32 v1, v2, v42
	v_fmac_f32_e32 v0, v2, v41
	v_fma_f32 v1, v3, v41, -v1
	s_waitcnt vmcnt(5)
	v_mul_f32_e32 v2, v9, v40
	v_mul_f32_e32 v3, v8, v40
	v_fmac_f32_e32 v2, v8, v39
	v_fma_f32 v3, v9, v39, -v3
	s_waitcnt vmcnt(4)
	v_mul_f32_e32 v4, v11, v38
	v_mul_f32_e32 v5, v10, v38
	ds_write2_b64 v47, v[0:1], v[2:3] offset1:225
	s_waitcnt vmcnt(2)
	v_mul_f32_e32 v0, v13, v36
	v_mul_f32_e32 v1, v12, v36
	v_fmac_f32_e32 v4, v10, v37
	s_waitcnt vmcnt(0)
	v_mul_f32_e32 v2, v7, v34
	v_mul_f32_e32 v3, v6, v34
	v_fma_f32 v5, v11, v37, -v5
	v_fmac_f32_e32 v0, v12, v35
	v_fma_f32 v1, v13, v35, -v1
	v_fmac_f32_e32 v2, v6, v33
	v_fma_f32 v3, v7, v33, -v3
	ds_write2_b64 v14, v[4:5], v[0:1] offset0:2 offset1:227
	ds_write_b64 v47, v[2:3] offset:7200
	s_waitcnt lgkmcnt(0)
	s_barrier
	ds_read2_b64 v[0:3], v47 offset1:225
	ds_read2_b64 v[4:7], v14 offset0:2 offset1:227
	ds_read_b64 v[8:9], v47 offset:7200
	s_waitcnt lgkmcnt(0)
	s_barrier
	v_add_f32_e32 v15, v0, v2
	v_add_f32_e32 v10, v4, v6
	;; [unrolled: 1-line block ×5, first 2 shown]
	v_fma_f32 v10, -0.5, v10, v0
	v_fma_f32 v12, -0.5, v12, v0
	v_add_f32_e32 v0, v1, v3
	v_fma_f32 v11, -0.5, v11, v1
	v_fma_f32 v13, -0.5, v13, v1
	v_add_f32_e32 v1, v15, v4
	v_add_f32_e32 v0, v0, v5
	v_sub_f32_e32 v17, v2, v4
	v_sub_f32_e32 v18, v4, v2
	;; [unrolled: 1-line block ×3, first 2 shown]
	v_add_f32_e32 v1, v1, v6
	v_add_f32_e32 v2, v0, v7
	;; [unrolled: 1-line block ×4, first 2 shown]
	v_sub_f32_e32 v2, v8, v6
	v_sub_f32_e32 v16, v3, v9
	;; [unrolled: 1-line block ×6, first 2 shown]
	v_add_f32_e32 v4, v17, v2
	v_mov_b32_e32 v2, v10
	v_sub_f32_e32 v5, v5, v7
	v_fmac_f32_e32 v2, 0x3f737871, v16
	v_fmac_f32_e32 v10, 0xbf737871, v16
	;; [unrolled: 1-line block ×6, first 2 shown]
	v_mov_b32_e32 v4, v12
	v_fmac_f32_e32 v4, 0xbf737871, v5
	v_fmac_f32_e32 v12, 0x3f737871, v5
	v_add_f32_e32 v3, v18, v3
	v_fmac_f32_e32 v4, 0x3f167918, v16
	v_fmac_f32_e32 v12, 0xbf167918, v16
	;; [unrolled: 1-line block ×4, first 2 shown]
	v_mov_b32_e32 v3, v11
	v_sub_f32_e32 v8, v9, v7
	v_fmac_f32_e32 v3, 0xbf737871, v19
	v_fmac_f32_e32 v11, 0x3f737871, v19
	;; [unrolled: 1-line block ×3, first 2 shown]
	v_add_f32_e32 v5, v20, v8
	v_fmac_f32_e32 v11, 0x3f167918, v6
	v_fmac_f32_e32 v3, 0x3e9e377a, v5
	;; [unrolled: 1-line block ×3, first 2 shown]
	v_mov_b32_e32 v5, v13
	v_sub_f32_e32 v9, v7, v9
	v_fmac_f32_e32 v5, 0x3f737871, v6
	v_fmac_f32_e32 v13, 0xbf737871, v6
	v_mul_lo_u16_e32 v6, 5, v48
	v_fmac_f32_e32 v5, 0xbf167918, v19
	v_add_f32_e32 v7, v21, v9
	v_fmac_f32_e32 v13, 0x3f167918, v19
	v_lshlrev_b32_e32 v50, 3, v6
	v_fmac_f32_e32 v5, 0x3e9e377a, v7
	v_fmac_f32_e32 v13, 0x3e9e377a, v7
	ds_write2_b64 v50, v[0:1], v[2:3] offset1:1
	ds_write2_b64 v50, v[4:5], v[12:13] offset0:2 offset1:3
	ds_write_b64 v50, v[10:11] offset:32
	v_mul_lo_u16_sdwa v0, v48, s2 dst_sel:DWORD dst_unused:UNUSED_PAD src0_sel:BYTE_0 src1_sel:DWORD
	v_lshrrev_b16_e32 v18, 10, v0
	v_mul_lo_u16_e32 v0, 5, v18
	v_sub_u16_e32 v0, v48, v0
	v_and_b32_e32 v19, 0xff, v0
	v_lshlrev_b32_e32 v8, 5, v19
	s_waitcnt lgkmcnt(0)
	s_barrier
	global_load_dwordx4 v[4:7], v8, s[14:15]
	global_load_dwordx4 v[0:3], v8, s[14:15] offset:16
	ds_read2_b64 v[8:11], v14 offset0:2 offset1:227
	ds_read_b64 v[16:17], v47 offset:7200
	ds_read2_b64 v[12:15], v47 offset1:225
	s_waitcnt vmcnt(0) lgkmcnt(0)
	s_barrier
	s_movk_i32 s2, 0x96
	v_cmp_gt_u16_e32 vcc, s2, v48
	v_mul_f32_e32 v20, v9, v7
	v_mul_f32_e32 v22, v11, v1
	;; [unrolled: 1-line block ×4, first 2 shown]
	v_fma_f32 v20, v8, v6, -v20
	v_fma_f32 v22, v10, v0, -v22
	v_mul_f32_e32 v21, v8, v7
	v_mul_f32_e32 v26, v16, v3
	v_fma_f32 v27, v16, v2, -v24
	v_add_f32_e32 v8, v20, v22
	v_fma_f32 v28, v14, v4, -v25
	v_mul_f32_e32 v14, v14, v5
	v_mul_f32_e32 v23, v10, v1
	v_fmac_f32_e32 v26, v17, v2
	v_fma_f32 v16, -0.5, v8, v12
	v_fmac_f32_e32 v14, v15, v4
	v_add_f32_e32 v8, v28, v27
	v_fmac_f32_e32 v21, v9, v6
	v_fmac_f32_e32 v23, v11, v0
	v_fma_f32 v24, -0.5, v8, v12
	v_add_f32_e32 v8, v14, v26
	v_sub_f32_e32 v10, v28, v20
	v_sub_f32_e32 v11, v27, v22
	v_add_f32_e32 v9, v21, v23
	v_fma_f32 v25, -0.5, v8, v13
	v_add_f32_e32 v8, v12, v28
	v_add_f32_e32 v12, v10, v11
	v_sub_f32_e32 v10, v14, v21
	v_sub_f32_e32 v11, v26, v23
	v_fma_f32 v17, -0.5, v9, v13
	v_add_f32_e32 v9, v13, v14
	v_add_f32_e32 v13, v10, v11
	v_mul_u32_u24_e32 v10, 25, v18
	v_add_lshl_u32 v51, v10, v19, 3
	v_sub_f32_e32 v15, v14, v26
	v_mov_b32_e32 v10, v16
	v_mov_b32_e32 v11, v17
	v_sub_f32_e32 v19, v28, v27
	v_add_f32_e32 v8, v8, v20
	v_add_f32_e32 v9, v9, v21
	v_fmac_f32_e32 v10, 0x3f737871, v15
	v_sub_f32_e32 v18, v21, v23
	v_fmac_f32_e32 v11, 0xbf737871, v19
	v_sub_f32_e32 v29, v20, v22
	v_add_f32_e32 v8, v8, v22
	v_add_f32_e32 v9, v9, v23
	v_fmac_f32_e32 v10, 0x3f167918, v18
	v_fmac_f32_e32 v11, 0xbf167918, v29
	v_add_f32_e32 v8, v8, v27
	v_add_f32_e32 v9, v9, v26
	v_fmac_f32_e32 v10, 0x3e9e377a, v12
	v_fmac_f32_e32 v11, 0x3e9e377a, v13
	ds_write2_b64 v51, v[8:9], v[10:11] offset1:5
	v_sub_f32_e32 v8, v20, v28
	v_sub_f32_e32 v9, v22, v27
	v_add_f32_e32 v9, v8, v9
	v_mov_b32_e32 v8, v24
	v_fmac_f32_e32 v8, 0xbf737871, v18
	v_fmac_f32_e32 v24, 0x3f737871, v18
	;; [unrolled: 1-line block ×6, first 2 shown]
	v_sub_f32_e32 v9, v21, v14
	v_sub_f32_e32 v10, v23, v26
	v_add_f32_e32 v10, v9, v10
	v_mov_b32_e32 v9, v25
	v_fmac_f32_e32 v9, 0x3f737871, v29
	v_fmac_f32_e32 v25, 0xbf737871, v29
	;; [unrolled: 1-line block ×12, first 2 shown]
	ds_write2_b64 v51, v[8:9], v[24:25] offset0:10 offset1:15
	ds_write_b64 v51, v[16:17] offset:160
	s_waitcnt lgkmcnt(0)
	s_barrier
	ds_read_b64 v[18:19], v47
	ds_read_b64 v[26:27], v47 offset:3000
	ds_read_b64 v[22:23], v47 offset:6000
                                        ; implicit-def: $vgpr20
	s_and_saveexec_b64 s[2:3], vcc
	s_cbranch_execz .LBB0_3
; %bb.2:
	ds_read_b64 v[24:25], v47 offset:1800
	ds_read_b64 v[16:17], v47 offset:4800
	;; [unrolled: 1-line block ×3, first 2 shown]
.LBB0_3:
	s_or_b64 exec, exec, s[2:3]
	v_add_u16_e32 v56, 0xe1, v48
	v_mov_b32_e32 v8, 41
	v_mul_u32_u24_e32 v12, 0x47af, v56
	v_mul_lo_u16_sdwa v8, v48, v8 dst_sel:DWORD dst_unused:UNUSED_PAD src0_sel:BYTE_0 src1_sel:DWORD
	v_sub_u16_sdwa v13, v56, v12 dst_sel:DWORD dst_unused:UNUSED_PAD src0_sel:DWORD src1_sel:WORD_1
	v_lshrrev_b16_e32 v28, 10, v8
	v_lshrrev_b16_e32 v13, 1, v13
	v_mul_lo_u16_e32 v8, 25, v28
	v_add_u16_sdwa v12, v13, v12 dst_sel:DWORD dst_unused:UNUSED_PAD src0_sel:DWORD src1_sel:WORD_1
	v_sub_u16_e32 v8, v48, v8
	v_lshrrev_b16_e32 v52, 4, v12
	v_and_b32_e32 v29, 0xff, v8
	v_mul_lo_u16_e32 v12, 25, v52
	v_lshlrev_b32_e32 v8, 4, v29
	v_sub_u16_e32 v53, v56, v12
	global_load_dwordx4 v[8:11], v8, s[14:15] offset:160
	v_lshlrev_b16_e32 v12, 4, v53
	v_mov_b32_e32 v13, s15
	v_add_co_u32_e64 v12, s[2:3], s14, v12
	v_addc_co_u32_e64 v13, s[2:3], 0, v13, s[2:3]
	global_load_dwordx4 v[12:15], v[12:13], off offset:160
	v_mul_u32_u24_e32 v28, 0x4b, v28
	v_add_lshl_u32 v54, v28, v29, 3
	s_movk_i32 s6, 0x4b
	s_waitcnt vmcnt(0) lgkmcnt(0)
	s_barrier
	v_mul_f32_e32 v28, v27, v9
	v_mul_f32_e32 v30, v23, v11
	;; [unrolled: 1-line block ×4, first 2 shown]
	v_fma_f32 v26, v26, v8, -v28
	v_fma_f32 v22, v22, v10, -v30
	v_fmac_f32_e32 v29, v27, v8
	v_add_f32_e32 v27, v26, v22
	v_fmac_f32_e32 v31, v23, v10
	v_add_f32_e32 v23, v18, v26
	v_mul_f32_e32 v43, v17, v13
	v_mul_f32_e32 v44, v16, v13
	;; [unrolled: 1-line block ×4, first 2 shown]
	v_fma_f32 v18, -0.5, v27, v18
	v_sub_f32_e32 v28, v29, v31
	v_add_f32_e32 v30, v19, v29
	v_fma_f32 v27, v16, v12, -v43
	v_fmac_f32_e32 v44, v17, v12
	v_fma_f32 v20, v20, v14, -v45
	v_fmac_f32_e32 v46, v21, v14
	v_mov_b32_e32 v16, v18
	v_add_f32_e32 v29, v29, v31
	v_sub_f32_e32 v26, v26, v22
	v_add_f32_e32 v22, v23, v22
	v_add_f32_e32 v23, v30, v31
	v_fmac_f32_e32 v18, 0xbf5db3d7, v28
	v_fmac_f32_e32 v16, 0x3f5db3d7, v28
	v_add_f32_e32 v28, v27, v20
	v_add_f32_e32 v31, v44, v46
	v_fmac_f32_e32 v19, -0.5, v29
	v_add_f32_e32 v21, v24, v27
	v_add_f32_e32 v30, v25, v44
	v_fmac_f32_e32 v24, -0.5, v28
	v_fmac_f32_e32 v25, -0.5, v31
	v_mov_b32_e32 v17, v19
	v_sub_f32_e32 v29, v44, v46
	v_sub_f32_e32 v43, v27, v20
	v_add_f32_e32 v27, v30, v46
	v_mov_b32_e32 v30, v24
	v_mov_b32_e32 v31, v25
	v_fmac_f32_e32 v19, 0x3f5db3d7, v26
	v_fmac_f32_e32 v17, 0xbf5db3d7, v26
	v_add_f32_e32 v26, v21, v20
	v_fmac_f32_e32 v24, 0xbf5db3d7, v29
	v_fmac_f32_e32 v25, 0x3f5db3d7, v43
	;; [unrolled: 1-line block ×4, first 2 shown]
	ds_write2_b64 v54, v[22:23], v[16:17] offset1:25
	ds_write_b64 v54, v[18:19] offset:400
	s_and_saveexec_b64 s[2:3], vcc
	s_cbranch_execz .LBB0_5
; %bb.4:
	v_mad_legacy_u16 v16, v52, s6, v53
	v_lshlrev_b32_e32 v16, 3, v16
	ds_write2_b64 v16, v[26:27], v[30:31] offset1:25
	ds_write_b64 v16, v[24:25] offset:400
.LBB0_5:
	s_or_b64 exec, exec, s[2:3]
	s_waitcnt lgkmcnt(0)
	s_barrier
	ds_read_b64 v[28:29], v47
	ds_read_b64 v[45:46], v47 offset:3000
	ds_read_b64 v[43:44], v47 offset:6000
	s_and_saveexec_b64 s[2:3], vcc
	s_cbranch_execz .LBB0_7
; %bb.6:
	ds_read_b64 v[26:27], v47 offset:1800
	ds_read_b64 v[30:31], v47 offset:4800
	ds_read_b64 v[24:25], v47 offset:7800
.LBB0_7:
	s_or_b64 exec, exec, s[2:3]
	s_movk_i32 s2, 0xdb
	v_mul_lo_u16_sdwa v16, v48, s2 dst_sel:DWORD dst_unused:UNUSED_PAD src0_sel:BYTE_0 src1_sel:DWORD
	v_lshrrev_b16_e32 v57, 14, v16
	v_mul_lo_u16_e32 v16, 0x4b, v57
	v_sub_u16_e32 v16, v48, v16
	v_and_b32_e32 v58, 0xff, v16
	v_lshlrev_b32_e32 v16, 4, v58
	global_load_dwordx4 v[20:23], v16, s[14:15] offset:560
	v_mul_u32_u24_e32 v16, 0xb4e9, v56
	v_sub_u16_sdwa v18, v56, v16 dst_sel:DWORD dst_unused:UNUSED_PAD src0_sel:DWORD src1_sel:WORD_1
	v_lshrrev_b16_e32 v18, 1, v18
	v_add_u16_sdwa v16, v18, v16 dst_sel:DWORD dst_unused:UNUSED_PAD src0_sel:DWORD src1_sel:WORD_1
	v_lshrrev_b16_e32 v55, 6, v16
	v_mul_lo_u16_e32 v16, 0x4b, v55
	v_sub_u16_e32 v56, v56, v16
	v_lshlrev_b16_e32 v16, 4, v56
	v_mov_b32_e32 v17, s15
	v_add_co_u32_e64 v16, s[2:3], s14, v16
	v_addc_co_u32_e64 v17, s[2:3], 0, v17, s[2:3]
	global_load_dwordx4 v[16:19], v[16:17], off offset:560
	v_mul_u32_u24_e32 v57, 0xe1, v57
	v_add_lshl_u32 v57, v57, v58, 3
	s_waitcnt vmcnt(0) lgkmcnt(0)
	s_barrier
	s_movk_i32 s6, 0xe1
	v_mul_f32_e32 v58, v46, v21
	v_mul_f32_e32 v59, v45, v21
	;; [unrolled: 1-line block ×4, first 2 shown]
	v_fma_f32 v45, v45, v20, -v58
	v_fmac_f32_e32 v59, v46, v20
	v_fma_f32 v43, v43, v22, -v60
	v_fmac_f32_e32 v61, v44, v22
	v_add_f32_e32 v44, v28, v45
	v_add_f32_e32 v58, v45, v43
	v_sub_f32_e32 v62, v59, v61
	v_add_f32_e32 v60, v29, v59
	v_add_f32_e32 v59, v59, v61
	v_sub_f32_e32 v63, v45, v43
	v_mul_f32_e32 v64, v31, v17
	v_mul_f32_e32 v45, v30, v17
	;; [unrolled: 1-line block ×4, first 2 shown]
	v_fma_f32 v28, -0.5, v58, v28
	v_fmac_f32_e32 v29, -0.5, v59
	v_fma_f32 v30, v30, v16, -v64
	v_fmac_f32_e32 v45, v31, v16
	v_fma_f32 v24, v24, v18, -v65
	v_fmac_f32_e32 v46, v25, v18
	v_add_f32_e32 v43, v44, v43
	v_add_f32_e32 v44, v60, v61
	v_mov_b32_e32 v60, v28
	v_mov_b32_e32 v61, v29
	v_add_f32_e32 v25, v30, v24
	v_add_f32_e32 v59, v45, v46
	v_fmac_f32_e32 v60, 0x3f5db3d7, v62
	v_fmac_f32_e32 v61, 0xbf5db3d7, v63
	v_fma_f32 v25, -0.5, v25, v26
	v_fma_f32 v59, -0.5, v59, v27
	v_sub_f32_e32 v31, v45, v46
	v_sub_f32_e32 v58, v30, v24
	ds_write2_b64 v57, v[43:44], v[60:61] offset1:75
	v_mov_b32_e32 v43, v25
	v_mov_b32_e32 v44, v59
	v_fmac_f32_e32 v28, 0xbf5db3d7, v62
	v_fmac_f32_e32 v29, 0x3f5db3d7, v63
	v_fmac_f32_e32 v43, 0xbf5db3d7, v31
	v_fmac_f32_e32 v44, 0x3f5db3d7, v58
	ds_write_b64 v57, v[28:29] offset:1200
	s_and_saveexec_b64 s[2:3], vcc
	s_cbranch_execz .LBB0_9
; %bb.8:
	v_mul_f32_e32 v29, 0x3f5db3d7, v31
	v_add_f32_e32 v27, v27, v45
	v_add_f32_e32 v31, v27, v46
	;; [unrolled: 1-line block ×4, first 2 shown]
	v_mul_f32_e32 v28, 0x3f5db3d7, v58
	v_add_f32_e32 v30, v25, v24
	v_mad_legacy_u16 v24, v55, s6, v56
	v_sub_f32_e32 v28, v59, v28
	v_lshlrev_b32_e32 v24, 3, v24
	ds_write2_b64 v24, v[30:31], v[27:28] offset1:75
	ds_write_b64 v24, v[43:44] offset:1200
.LBB0_9:
	s_or_b64 exec, exec, s[2:3]
	v_mov_b32_e32 v24, s13
	v_add_u32_e32 v45, 0xe00, v47
	v_lshlrev_b32_e32 v68, 5, v48
	v_addc_co_u32_e64 v46, s[0:1], 0, v24, s[0:1]
	s_waitcnt lgkmcnt(0)
	s_barrier
	ds_read2_b64 v[58:61], v47 offset1:225
	ds_read2_b64 v[62:65], v45 offset0:2 offset1:227
	ds_read_b64 v[66:67], v47 offset:7200
	global_load_dwordx4 v[24:27], v68, s[14:15] offset:1776
	global_load_dwordx4 v[28:31], v68, s[14:15] offset:1760
	s_movk_i32 s0, 0x2328
	s_waitcnt vmcnt(1) lgkmcnt(0)
	v_mul_f32_e32 v74, v66, v27
	s_waitcnt vmcnt(0)
	v_mul_f32_e32 v68, v61, v29
	v_fma_f32 v68, v60, v28, -v68
	v_mul_f32_e32 v69, v60, v29
	v_mul_f32_e32 v60, v63, v31
	v_fma_f32 v70, v62, v30, -v60
	v_mul_f32_e32 v60, v65, v25
	v_fma_f32 v72, v64, v24, -v60
	v_fmac_f32_e32 v69, v61, v28
	v_add_f32_e32 v61, v70, v72
	v_mul_f32_e32 v71, v62, v31
	v_mul_f32_e32 v73, v64, v25
	;; [unrolled: 1-line block ×3, first 2 shown]
	v_fmac_f32_e32 v74, v67, v26
	v_fma_f32 v62, -0.5, v61, v58
	v_fmac_f32_e32 v71, v63, v30
	v_fmac_f32_e32 v73, v65, v24
	v_fma_f32 v65, v66, v26, -v60
	v_sub_f32_e32 v61, v69, v74
	v_mov_b32_e32 v64, v62
	v_fmac_f32_e32 v64, 0x3f737871, v61
	v_sub_f32_e32 v63, v71, v73
	v_sub_f32_e32 v66, v68, v70
	;; [unrolled: 1-line block ×3, first 2 shown]
	v_fmac_f32_e32 v62, 0xbf737871, v61
	v_fmac_f32_e32 v64, 0x3f167918, v63
	v_add_f32_e32 v66, v66, v67
	v_fmac_f32_e32 v62, 0xbf167918, v63
	v_fmac_f32_e32 v64, 0x3e9e377a, v66
	;; [unrolled: 1-line block ×3, first 2 shown]
	v_add_f32_e32 v66, v68, v65
	v_add_f32_e32 v60, v58, v68
	v_fma_f32 v58, -0.5, v66, v58
	v_mov_b32_e32 v66, v58
	v_add_f32_e32 v60, v60, v70
	v_fmac_f32_e32 v66, 0xbf737871, v63
	v_fmac_f32_e32 v58, 0x3f737871, v63
	v_add_f32_e32 v63, v71, v73
	v_add_f32_e32 v60, v60, v72
	v_sub_f32_e32 v67, v70, v68
	v_sub_f32_e32 v75, v72, v65
	v_fma_f32 v63, -0.5, v63, v59
	v_add_f32_e32 v60, v60, v65
	v_fmac_f32_e32 v66, 0x3f167918, v61
	v_add_f32_e32 v67, v67, v75
	v_fmac_f32_e32 v58, 0xbf167918, v61
	v_sub_f32_e32 v68, v68, v65
	v_mov_b32_e32 v65, v63
	v_fmac_f32_e32 v66, 0x3e9e377a, v67
	v_fmac_f32_e32 v58, 0x3e9e377a, v67
	;; [unrolled: 1-line block ×3, first 2 shown]
	v_sub_f32_e32 v70, v70, v72
	v_sub_f32_e32 v67, v69, v71
	;; [unrolled: 1-line block ×3, first 2 shown]
	v_fmac_f32_e32 v63, 0x3f737871, v68
	v_fmac_f32_e32 v65, 0xbf167918, v70
	v_add_f32_e32 v67, v67, v72
	v_fmac_f32_e32 v63, 0x3f167918, v70
	v_fmac_f32_e32 v65, 0x3e9e377a, v67
	;; [unrolled: 1-line block ×3, first 2 shown]
	v_add_f32_e32 v67, v69, v74
	v_add_f32_e32 v61, v59, v69
	v_fma_f32 v59, -0.5, v67, v59
	v_add_f32_e32 v61, v61, v71
	v_mov_b32_e32 v67, v59
	v_add_f32_e32 v61, v61, v73
	v_fmac_f32_e32 v67, 0x3f737871, v70
	v_sub_f32_e32 v69, v71, v69
	v_sub_f32_e32 v71, v73, v74
	v_fmac_f32_e32 v59, 0xbf737871, v70
	v_add_f32_e32 v61, v61, v74
	v_fmac_f32_e32 v67, 0xbf167918, v68
	v_add_f32_e32 v69, v69, v71
	v_fmac_f32_e32 v59, 0x3f167918, v68
	v_fmac_f32_e32 v67, 0x3e9e377a, v69
	;; [unrolled: 1-line block ×3, first 2 shown]
	ds_write2_b64 v47, v[60:61], v[64:65] offset1:225
	ds_write2_b64 v45, v[66:67], v[58:59] offset0:2 offset1:227
	ds_write_b64 v47, v[62:63] offset:7200
	v_add_co_u32_e64 v62, s[0:1], s0, v49
	v_addc_co_u32_e64 v63, s[0:1], 0, v46, s[0:1]
	s_movk_i32 s0, 0x2000
	v_add_co_u32_e64 v64, s[0:1], s0, v49
	v_addc_co_u32_e64 v65, s[0:1], 0, v46, s[0:1]
	s_waitcnt lgkmcnt(0)
	s_barrier
	global_load_dwordx2 v[64:65], v[64:65], off offset:808
	ds_read2_b64 v[58:61], v47 offset1:225
	s_movk_i32 s0, 0x3000
	s_waitcnt vmcnt(0) lgkmcnt(0)
	v_mul_f32_e32 v66, v59, v65
	v_mul_f32_e32 v67, v58, v65
	v_fma_f32 v66, v58, v64, -v66
	v_fmac_f32_e32 v67, v59, v64
	global_load_dwordx2 v[58:59], v[62:63], off offset:1800
	s_waitcnt vmcnt(0)
	v_mul_f32_e32 v64, v61, v59
	global_load_dwordx2 v[62:63], v[62:63], off offset:3600
	v_mul_f32_e32 v65, v60, v59
	v_fma_f32 v64, v60, v58, -v64
	v_fmac_f32_e32 v65, v61, v58
	ds_write2_b64 v47, v[66:67], v[64:65] offset1:225
	ds_read2_b64 v[58:61], v45 offset0:2 offset1:227
	s_waitcnt vmcnt(0) lgkmcnt(0)
	v_mul_f32_e32 v64, v59, v63
	v_fma_f32 v64, v58, v62, -v64
	v_mul_f32_e32 v65, v58, v63
	v_add_co_u32_e64 v58, s[0:1], s0, v49
	v_fmac_f32_e32 v65, v59, v62
	v_addc_co_u32_e64 v59, s[0:1], 0, v46, s[0:1]
	global_load_dwordx2 v[62:63], v[58:59], off offset:2112
	s_waitcnt vmcnt(0)
	v_mul_f32_e32 v46, v61, v63
	global_load_dwordx2 v[58:59], v[58:59], off offset:3912
	v_mul_f32_e32 v67, v60, v63
	v_fma_f32 v66, v60, v62, -v46
	v_fmac_f32_e32 v67, v61, v62
	ds_read_b64 v[60:61], v47 offset:7200
	ds_write2_b64 v45, v[64:65], v[66:67] offset0:2 offset1:227
	s_waitcnt vmcnt(0) lgkmcnt(1)
	v_mul_f32_e32 v46, v61, v59
	v_mul_f32_e32 v63, v60, v59
	v_fma_f32 v62, v60, v58, -v46
	v_fmac_f32_e32 v63, v61, v58
	ds_write_b64 v47, v[62:63] offset:7200
	s_waitcnt lgkmcnt(0)
	s_barrier
	ds_read2_b64 v[58:61], v47 offset1:225
	ds_read2_b64 v[62:65], v45 offset0:2 offset1:227
	ds_read_b64 v[66:67], v47 offset:7200
	s_waitcnt lgkmcnt(0)
	s_barrier
	v_add_f32_e32 v46, v58, v60
	v_add_f32_e32 v46, v46, v62
	;; [unrolled: 1-line block ×5, first 2 shown]
	v_fma_f32 v70, -0.5, v46, v58
	v_sub_f32_e32 v46, v61, v67
	v_mov_b32_e32 v72, v70
	v_fmac_f32_e32 v72, 0xbf737871, v46
	v_sub_f32_e32 v49, v63, v65
	v_sub_f32_e32 v69, v60, v62
	;; [unrolled: 1-line block ×3, first 2 shown]
	v_fmac_f32_e32 v70, 0x3f737871, v46
	v_fmac_f32_e32 v72, 0xbf167918, v49
	v_add_f32_e32 v69, v69, v71
	v_fmac_f32_e32 v70, 0x3f167918, v49
	v_fmac_f32_e32 v72, 0x3e9e377a, v69
	;; [unrolled: 1-line block ×3, first 2 shown]
	v_add_f32_e32 v69, v60, v66
	v_fma_f32 v58, -0.5, v69, v58
	v_mov_b32_e32 v74, v58
	v_fmac_f32_e32 v74, 0x3f737871, v49
	v_fmac_f32_e32 v58, 0xbf737871, v49
	;; [unrolled: 1-line block ×4, first 2 shown]
	v_add_f32_e32 v46, v59, v61
	v_sub_f32_e32 v69, v62, v60
	v_sub_f32_e32 v71, v64, v66
	v_add_f32_e32 v46, v46, v63
	v_add_f32_e32 v69, v69, v71
	;; [unrolled: 1-line block ×3, first 2 shown]
	v_fmac_f32_e32 v74, 0x3e9e377a, v69
	v_fmac_f32_e32 v58, 0x3e9e377a, v69
	v_add_f32_e32 v69, v46, v67
	v_add_f32_e32 v46, v63, v65
	v_fma_f32 v71, -0.5, v46, v59
	v_sub_f32_e32 v46, v60, v66
	v_mov_b32_e32 v73, v71
	v_fmac_f32_e32 v73, 0x3f737871, v46
	v_sub_f32_e32 v49, v62, v64
	v_sub_f32_e32 v60, v61, v63
	;; [unrolled: 1-line block ×3, first 2 shown]
	v_fmac_f32_e32 v71, 0xbf737871, v46
	v_fmac_f32_e32 v73, 0x3f167918, v49
	v_add_f32_e32 v60, v60, v62
	v_fmac_f32_e32 v71, 0xbf167918, v49
	v_fmac_f32_e32 v73, 0x3e9e377a, v60
	v_fmac_f32_e32 v71, 0x3e9e377a, v60
	v_add_f32_e32 v60, v61, v67
	v_fma_f32 v59, -0.5, v60, v59
	v_mov_b32_e32 v75, v59
	v_sub_f32_e32 v60, v63, v61
	v_sub_f32_e32 v61, v65, v67
	v_fmac_f32_e32 v59, 0x3f737871, v49
	v_fmac_f32_e32 v75, 0xbf737871, v49
	v_add_f32_e32 v60, v60, v61
	v_fmac_f32_e32 v59, 0xbf167918, v46
	v_fmac_f32_e32 v75, 0x3f167918, v46
	;; [unrolled: 1-line block ×4, first 2 shown]
	ds_write2_b64 v50, v[68:69], v[72:73] offset1:1
	ds_write2_b64 v50, v[74:75], v[58:59] offset0:2 offset1:3
	ds_write_b64 v50, v[70:71] offset:32
	s_waitcnt lgkmcnt(0)
	s_barrier
	ds_read2_b64 v[58:61], v47 offset1:225
	ds_read2_b64 v[62:65], v45 offset0:2 offset1:227
	ds_read_b64 v[45:46], v47 offset:7200
	s_waitcnt lgkmcnt(0)
	s_barrier
	v_mul_f32_e32 v49, v5, v61
	v_fmac_f32_e32 v49, v4, v60
	v_mul_f32_e32 v5, v5, v60
	v_mul_f32_e32 v60, v7, v63
	v_fma_f32 v50, v4, v61, -v5
	v_fmac_f32_e32 v60, v6, v62
	v_mul_f32_e32 v4, v7, v62
	v_mul_f32_e32 v62, v1, v65
	;; [unrolled: 1-line block ×3, first 2 shown]
	v_fma_f32 v61, v6, v63, -v4
	v_fmac_f32_e32 v62, v0, v64
	v_fma_f32 v63, v0, v65, -v1
	v_mul_f32_e32 v0, v3, v45
	v_fma_f32 v64, v2, v46, -v0
	v_add_f32_e32 v0, v58, v49
	v_mul_f32_e32 v1, v3, v46
	v_add_f32_e32 v0, v0, v60
	v_fmac_f32_e32 v1, v2, v45
	v_add_f32_e32 v0, v0, v62
	v_add_f32_e32 v4, v0, v1
	;; [unrolled: 1-line block ×3, first 2 shown]
	v_fma_f32 v2, -0.5, v0, v58
	v_sub_f32_e32 v3, v50, v64
	v_mov_b32_e32 v6, v2
	v_fmac_f32_e32 v6, 0xbf737871, v3
	v_sub_f32_e32 v5, v61, v63
	v_sub_f32_e32 v0, v49, v60
	;; [unrolled: 1-line block ×3, first 2 shown]
	v_fmac_f32_e32 v2, 0x3f737871, v3
	v_fmac_f32_e32 v6, 0xbf167918, v5
	v_add_f32_e32 v0, v0, v7
	v_fmac_f32_e32 v2, 0x3f167918, v5
	v_fmac_f32_e32 v6, 0x3e9e377a, v0
	;; [unrolled: 1-line block ×3, first 2 shown]
	v_add_f32_e32 v0, v49, v1
	v_fma_f32 v0, -0.5, v0, v58
	v_mov_b32_e32 v45, v0
	v_fmac_f32_e32 v45, 0x3f737871, v5
	v_fmac_f32_e32 v0, 0xbf737871, v5
	;; [unrolled: 1-line block ×4, first 2 shown]
	v_add_f32_e32 v3, v59, v50
	v_add_f32_e32 v3, v3, v61
	;; [unrolled: 1-line block ×3, first 2 shown]
	v_sub_f32_e32 v7, v60, v49
	v_sub_f32_e32 v46, v62, v1
	v_add_f32_e32 v5, v3, v64
	v_add_f32_e32 v3, v61, v63
	;; [unrolled: 1-line block ×3, first 2 shown]
	v_fma_f32 v3, -0.5, v3, v59
	v_fmac_f32_e32 v45, 0x3e9e377a, v7
	v_fmac_f32_e32 v0, 0x3e9e377a, v7
	v_sub_f32_e32 v49, v49, v1
	v_mov_b32_e32 v7, v3
	v_fmac_f32_e32 v7, 0x3f737871, v49
	v_sub_f32_e32 v58, v60, v62
	v_sub_f32_e32 v1, v50, v61
	;; [unrolled: 1-line block ×3, first 2 shown]
	v_fmac_f32_e32 v3, 0xbf737871, v49
	v_fmac_f32_e32 v7, 0x3f167918, v58
	v_add_f32_e32 v1, v1, v46
	v_fmac_f32_e32 v3, 0xbf167918, v58
	v_fmac_f32_e32 v7, 0x3e9e377a, v1
	;; [unrolled: 1-line block ×3, first 2 shown]
	v_add_f32_e32 v1, v50, v64
	v_fma_f32 v1, -0.5, v1, v59
	v_mov_b32_e32 v46, v1
	v_fmac_f32_e32 v46, 0xbf737871, v58
	v_sub_f32_e32 v50, v61, v50
	v_sub_f32_e32 v59, v63, v64
	v_fmac_f32_e32 v46, 0x3f167918, v49
	v_add_f32_e32 v50, v50, v59
	v_fmac_f32_e32 v1, 0x3f737871, v58
	v_fmac_f32_e32 v46, 0x3e9e377a, v50
	;; [unrolled: 1-line block ×4, first 2 shown]
	ds_write2_b64 v51, v[4:5], v[6:7] offset1:5
	ds_write2_b64 v51, v[45:46], v[0:1] offset0:10 offset1:15
	ds_write_b64 v51, v[2:3] offset:160
	s_waitcnt lgkmcnt(0)
	s_barrier
	ds_read_b64 v[6:7], v47
	ds_read_b64 v[45:46], v47 offset:3000
	ds_read_b64 v[4:5], v47 offset:6000
	s_and_saveexec_b64 s[0:1], vcc
	s_cbranch_execz .LBB0_11
; %bb.10:
	ds_read_b64 v[0:1], v47 offset:1800
	ds_read_b64 v[2:3], v47 offset:4800
	;; [unrolled: 1-line block ×3, first 2 shown]
.LBB0_11:
	s_or_b64 exec, exec, s[0:1]
	s_waitcnt lgkmcnt(1)
	v_mul_f32_e32 v49, v9, v46
	v_mul_f32_e32 v9, v9, v45
	v_fmac_f32_e32 v49, v8, v45
	v_fma_f32 v45, v8, v46, -v9
	s_waitcnt lgkmcnt(0)
	v_mul_f32_e32 v46, v11, v5
	v_fmac_f32_e32 v46, v10, v4
	v_mul_f32_e32 v4, v11, v4
	v_fma_f32 v4, v10, v5, -v4
	v_mul_f32_e32 v5, v13, v3
	v_fmac_f32_e32 v5, v12, v2
	v_mul_f32_e32 v2, v13, v2
	v_fma_f32 v12, v12, v3, -v2
	v_mul_f32_e32 v13, v15, v44
	v_mul_f32_e32 v2, v15, v43
	v_fmac_f32_e32 v13, v14, v43
	v_fma_f32 v14, v14, v44, -v2
	v_add_f32_e32 v2, v6, v49
	v_add_f32_e32 v8, v2, v46
	;; [unrolled: 1-line block ×3, first 2 shown]
	v_fma_f32 v6, -0.5, v2, v6
	v_sub_f32_e32 v2, v45, v4
	v_mov_b32_e32 v10, v6
	v_fmac_f32_e32 v10, 0xbf5db3d7, v2
	v_fmac_f32_e32 v6, 0x3f5db3d7, v2
	v_add_f32_e32 v2, v7, v45
	v_add_f32_e32 v9, v2, v4
	;; [unrolled: 1-line block ×3, first 2 shown]
	v_fmac_f32_e32 v7, -0.5, v2
	v_sub_f32_e32 v2, v49, v46
	v_mov_b32_e32 v11, v7
	v_add_f32_e32 v3, v5, v13
	v_fmac_f32_e32 v11, 0x3f5db3d7, v2
	v_fmac_f32_e32 v7, 0xbf5db3d7, v2
	v_add_f32_e32 v2, v0, v5
	v_fmac_f32_e32 v0, -0.5, v3
	v_sub_f32_e32 v3, v12, v14
	v_mov_b32_e32 v4, v0
	v_fmac_f32_e32 v4, 0xbf5db3d7, v3
	v_fmac_f32_e32 v0, 0x3f5db3d7, v3
	v_add_f32_e32 v3, v1, v12
	v_add_f32_e32 v12, v12, v14
	v_fmac_f32_e32 v1, -0.5, v12
	v_sub_f32_e32 v12, v5, v13
	v_mov_b32_e32 v5, v1
	v_add_f32_e32 v2, v2, v13
	v_add_f32_e32 v3, v3, v14
	v_fmac_f32_e32 v5, 0x3f5db3d7, v12
	v_fmac_f32_e32 v1, 0xbf5db3d7, v12
	s_barrier
	ds_write2_b64 v54, v[8:9], v[10:11] offset1:25
	ds_write_b64 v54, v[6:7] offset:400
	s_and_saveexec_b64 s[0:1], vcc
	s_cbranch_execz .LBB0_13
; %bb.12:
	s_movk_i32 s2, 0x4b
	v_mad_legacy_u16 v6, v52, s2, v53
	v_lshlrev_b32_e32 v6, 3, v6
	ds_write2_b64 v6, v[2:3], v[4:5] offset1:25
	ds_write_b64 v6, v[0:1] offset:400
.LBB0_13:
	s_or_b64 exec, exec, s[0:1]
	s_waitcnt lgkmcnt(0)
	s_barrier
	ds_read_b64 v[6:7], v47
	ds_read_b64 v[10:11], v47 offset:3000
	ds_read_b64 v[8:9], v47 offset:6000
	s_and_saveexec_b64 s[0:1], vcc
	s_cbranch_execz .LBB0_15
; %bb.14:
	ds_read_b64 v[2:3], v47 offset:1800
	ds_read_b64 v[4:5], v47 offset:4800
	;; [unrolled: 1-line block ×3, first 2 shown]
.LBB0_15:
	s_or_b64 exec, exec, s[0:1]
	s_waitcnt lgkmcnt(1)
	v_mul_f32_e32 v12, v21, v11
	s_waitcnt lgkmcnt(0)
	v_mul_f32_e32 v13, v23, v9
	v_fmac_f32_e32 v12, v20, v10
	v_fmac_f32_e32 v13, v22, v8
	v_mul_f32_e32 v8, v23, v8
	v_mul_f32_e32 v10, v21, v10
	v_fma_f32 v14, v22, v9, -v8
	v_add_f32_e32 v9, v12, v13
	v_fma_f32 v11, v20, v11, -v10
	v_add_f32_e32 v8, v6, v12
	v_fma_f32 v6, -0.5, v9, v6
	v_sub_f32_e32 v9, v11, v14
	v_mov_b32_e32 v10, v6
	v_fmac_f32_e32 v10, 0xbf5db3d7, v9
	v_fmac_f32_e32 v6, 0x3f5db3d7, v9
	v_add_f32_e32 v9, v7, v11
	v_add_f32_e32 v11, v11, v14
	v_fmac_f32_e32 v7, -0.5, v11
	v_sub_f32_e32 v12, v12, v13
	v_mov_b32_e32 v11, v7
	v_add_f32_e32 v8, v8, v13
	v_add_f32_e32 v9, v9, v14
	v_fmac_f32_e32 v11, 0x3f5db3d7, v12
	v_fmac_f32_e32 v7, 0xbf5db3d7, v12
	s_barrier
	ds_write2_b64 v57, v[8:9], v[10:11] offset1:75
	ds_write_b64 v57, v[6:7] offset:1200
	s_and_saveexec_b64 s[0:1], vcc
	s_cbranch_execz .LBB0_17
; %bb.16:
	v_mul_f32_e32 v6, v17, v4
	v_fma_f32 v7, v16, v5, -v6
	v_mul_f32_e32 v6, v19, v0
	v_fma_f32 v8, v18, v1, -v6
	v_mul_f32_e32 v9, v17, v5
	v_add_f32_e32 v6, v7, v8
	v_fmac_f32_e32 v9, v16, v4
	v_mul_f32_e32 v4, v19, v1
	v_fma_f32 v6, -0.5, v6, v3
	v_fmac_f32_e32 v4, v18, v0
	v_sub_f32_e32 v0, v9, v4
	v_mov_b32_e32 v1, v6
	v_fmac_f32_e32 v1, 0xbf5db3d7, v0
	v_fmac_f32_e32 v6, 0x3f5db3d7, v0
	v_add_f32_e32 v0, v3, v7
	v_add_f32_e32 v3, v0, v8
	;; [unrolled: 1-line block ×3, first 2 shown]
	v_fma_f32 v5, -0.5, v0, v2
	v_add_f32_e32 v2, v2, v9
	s_movk_i32 s2, 0xe1
	v_sub_f32_e32 v7, v7, v8
	v_add_f32_e32 v2, v2, v4
	v_mad_legacy_u16 v4, v55, s2, v56
	v_mov_b32_e32 v0, v5
	v_fmac_f32_e32 v5, 0xbf5db3d7, v7
	v_lshlrev_b32_e32 v4, 3, v4
	v_fmac_f32_e32 v0, 0x3f5db3d7, v7
	ds_write2_b64 v4, v[2:3], v[5:6] offset1:75
	ds_write_b64 v4, v[0:1] offset:1200
.LBB0_17:
	s_or_b64 exec, exec, s[0:1]
	s_waitcnt lgkmcnt(0)
	s_barrier
	ds_read2_b64 v[0:3], v47 offset1:225
	v_add_u32_e32 v15, 0xe00, v47
	ds_read2_b64 v[4:7], v15 offset0:2 offset1:227
	ds_read_b64 v[10:11], v47 offset:7200
	v_mad_u64_u32 v[8:9], s[0:1], s10, v32, 0
	s_waitcnt lgkmcnt(2)
	v_mul_f32_e32 v12, v29, v3
	v_fmac_f32_e32 v12, v28, v2
	v_mul_f32_e32 v2, v29, v2
	v_fma_f32 v13, v28, v3, -v2
	s_waitcnt lgkmcnt(1)
	v_mul_f32_e32 v14, v31, v5
	v_mul_f32_e32 v2, v31, v4
	;; [unrolled: 1-line block ×3, first 2 shown]
	v_fmac_f32_e32 v14, v30, v4
	v_fma_f32 v16, v30, v5, -v2
	v_fmac_f32_e32 v17, v24, v6
	v_mul_f32_e32 v2, v25, v6
	v_fma_f32 v18, v24, v7, -v2
	s_waitcnt lgkmcnt(0)
	v_mul_f32_e32 v2, v27, v10
	v_add_f32_e32 v3, v14, v17
	v_mul_f32_e32 v7, v27, v11
	v_fma_f32 v19, v26, v11, -v2
	v_fma_f32 v4, -0.5, v3, v0
	v_fmac_f32_e32 v7, v26, v10
	v_sub_f32_e32 v3, v13, v19
	v_mov_b32_e32 v6, v4
	v_fmac_f32_e32 v6, 0xbf737871, v3
	v_sub_f32_e32 v5, v16, v18
	v_sub_f32_e32 v10, v12, v14
	;; [unrolled: 1-line block ×3, first 2 shown]
	v_fmac_f32_e32 v4, 0x3f737871, v3
	v_fmac_f32_e32 v6, 0xbf167918, v5
	v_add_f32_e32 v10, v10, v11
	v_fmac_f32_e32 v4, 0x3f167918, v5
	v_fmac_f32_e32 v6, 0x3e9e377a, v10
	;; [unrolled: 1-line block ×3, first 2 shown]
	v_add_f32_e32 v10, v12, v7
	v_add_f32_e32 v2, v0, v12
	v_fma_f32 v0, -0.5, v10, v0
	v_mov_b32_e32 v10, v0
	v_add_f32_e32 v2, v2, v14
	v_fmac_f32_e32 v10, 0x3f737871, v5
	v_fmac_f32_e32 v0, 0xbf737871, v5
	v_add_f32_e32 v5, v16, v18
	v_add_f32_e32 v2, v2, v17
	v_sub_f32_e32 v11, v14, v12
	v_sub_f32_e32 v20, v17, v7
	v_fma_f32 v5, -0.5, v5, v1
	v_add_f32_e32 v2, v2, v7
	v_fmac_f32_e32 v10, 0xbf167918, v3
	v_add_f32_e32 v11, v11, v20
	v_fmac_f32_e32 v0, 0x3f167918, v3
	v_sub_f32_e32 v12, v12, v7
	v_mov_b32_e32 v7, v5
	v_fmac_f32_e32 v10, 0x3e9e377a, v11
	v_fmac_f32_e32 v0, 0x3e9e377a, v11
	;; [unrolled: 1-line block ×3, first 2 shown]
	v_sub_f32_e32 v14, v14, v17
	v_sub_f32_e32 v11, v13, v16
	;; [unrolled: 1-line block ×3, first 2 shown]
	v_fmac_f32_e32 v5, 0xbf737871, v12
	v_fmac_f32_e32 v7, 0x3f167918, v14
	v_add_f32_e32 v11, v11, v17
	v_fmac_f32_e32 v5, 0xbf167918, v14
	v_fmac_f32_e32 v7, 0x3e9e377a, v11
	;; [unrolled: 1-line block ×3, first 2 shown]
	v_add_f32_e32 v11, v13, v19
	v_add_f32_e32 v3, v1, v13
	v_fma_f32 v1, -0.5, v11, v1
	v_add_f32_e32 v3, v3, v16
	v_mov_b32_e32 v11, v1
	v_sub_f32_e32 v13, v16, v13
	v_sub_f32_e32 v16, v18, v19
	v_fmac_f32_e32 v1, 0x3f737871, v14
	v_add_f32_e32 v3, v3, v18
	v_fmac_f32_e32 v11, 0xbf737871, v14
	v_add_f32_e32 v13, v13, v16
	;; [unrolled: 2-line block ×3, first 2 shown]
	v_fmac_f32_e32 v11, 0x3f167918, v12
	v_fmac_f32_e32 v1, 0x3e9e377a, v13
	;; [unrolled: 1-line block ×3, first 2 shown]
	ds_write2_b64 v47, v[2:3], v[6:7] offset1:225
	ds_write2_b64 v15, v[10:11], v[0:1] offset0:2 offset1:227
	ds_write_b64 v47, v[4:5] offset:7200
	s_waitcnt lgkmcnt(0)
	s_barrier
	ds_read2_b64 v[0:3], v47 offset1:225
	s_mov_b32 s0, 0x5a912e32
	s_mov_b32 s1, 0x3f4d208a
	v_mad_u64_u32 v[10:11], s[2:3], s8, v48, 0
	s_waitcnt lgkmcnt(0)
	v_mul_f32_e32 v5, v42, v1
	v_fmac_f32_e32 v5, v41, v0
	v_cvt_f64_f32_e32 v[5:6], v5
	v_mul_f32_e32 v0, v42, v0
	v_fma_f32 v0, v41, v1, -v0
	v_cvt_f64_f32_e32 v[0:1], v0
	v_mul_f64 v[5:6], v[5:6], s[0:1]
	v_mov_b32_e32 v4, v9
	v_mul_f64 v[0:1], v[0:1], s[0:1]
	v_mad_u64_u32 v[12:13], s[2:3], s11, v32, v[4:5]
	v_mov_b32_e32 v4, v11
	v_mad_u64_u32 v[13:14], s[2:3], s9, v48, v[4:5]
	v_cvt_f32_f64_e32 v4, v[5:6]
	v_mul_f32_e32 v6, v40, v3
	v_fmac_f32_e32 v6, v39, v2
	v_mov_b32_e32 v9, v12
	v_cvt_f64_f32_e32 v[6:7], v6
	v_cvt_f32_f64_e32 v5, v[0:1]
	v_lshlrev_b64 v[0:1], 3, v[8:9]
	v_mul_f32_e32 v2, v40, v2
	v_fma_f32 v2, v39, v3, -v2
	v_mov_b32_e32 v11, v13
	v_mov_b32_e32 v8, s5
	v_cvt_f64_f32_e32 v[2:3], v2
	v_add_co_u32_e32 v12, vcc, s4, v0
	v_addc_co_u32_e32 v13, vcc, v8, v1, vcc
	v_lshlrev_b64 v[0:1], 3, v[10:11]
	v_mul_f64 v[6:7], v[6:7], s[0:1]
	v_add_co_u32_e32 v10, vcc, v12, v0
	v_mul_f64 v[8:9], v[2:3], s[0:1]
	v_addc_co_u32_e32 v11, vcc, v13, v1, vcc
	ds_read2_b64 v[0:3], v15 offset0:2 offset1:227
	global_store_dwordx2 v[10:11], v[4:5], off
	v_cvt_f32_f64_e32 v4, v[6:7]
	s_mul_i32 s2, s9, 0x708
	s_mul_hi_u32 s3, s8, 0x708
	s_waitcnt lgkmcnt(0)
	v_mul_f32_e32 v6, v38, v1
	v_fmac_f32_e32 v6, v37, v0
	v_mul_f32_e32 v0, v38, v0
	v_fma_f32 v0, v37, v1, -v0
	v_cvt_f64_f32_e32 v[0:1], v0
	v_cvt_f64_f32_e32 v[6:7], v6
	v_cvt_f32_f64_e32 v5, v[8:9]
	s_add_i32 s2, s3, s2
	v_mul_f64 v[0:1], v[0:1], s[0:1]
	v_mul_f64 v[6:7], v[6:7], s[0:1]
	s_mul_i32 s3, s8, 0x708
	v_mov_b32_e32 v9, s2
	v_add_co_u32_e32 v8, vcc, s3, v10
	v_addc_co_u32_e32 v9, vcc, v11, v9, vcc
	global_store_dwordx2 v[8:9], v[4:5], off
	v_cvt_f32_f64_e32 v5, v[0:1]
	v_mul_f32_e32 v0, v36, v3
	v_fmac_f32_e32 v0, v35, v2
	v_mul_f32_e32 v2, v36, v2
	v_fma_f32 v2, v35, v3, -v2
	v_cvt_f32_f64_e32 v4, v[6:7]
	v_cvt_f64_f32_e32 v[0:1], v0
	v_cvt_f64_f32_e32 v[2:3], v2
	ds_read_b64 v[6:7], v47 offset:7200
	v_mov_b32_e32 v10, s2
	v_add_co_u32_e32 v8, vcc, s3, v8
	v_addc_co_u32_e32 v9, vcc, v9, v10, vcc
	v_mul_f64 v[0:1], v[0:1], s[0:1]
	v_mul_f64 v[2:3], v[2:3], s[0:1]
	global_store_dwordx2 v[8:9], v[4:5], off
	s_waitcnt lgkmcnt(0)
	v_mul_f32_e32 v4, v34, v7
	v_fmac_f32_e32 v4, v33, v6
	v_mul_f32_e32 v6, v34, v6
	v_fma_f32 v6, v33, v7, -v6
	v_cvt_f64_f32_e32 v[4:5], v4
	v_cvt_f64_f32_e32 v[6:7], v6
	v_cvt_f32_f64_e32 v0, v[0:1]
	v_cvt_f32_f64_e32 v1, v[2:3]
	v_mul_f64 v[2:3], v[4:5], s[0:1]
	v_mul_f64 v[4:5], v[6:7], s[0:1]
	v_mov_b32_e32 v7, s2
	v_add_co_u32_e32 v6, vcc, s3, v8
	v_addc_co_u32_e32 v7, vcc, v9, v7, vcc
	global_store_dwordx2 v[6:7], v[0:1], off
	v_cvt_f32_f64_e32 v0, v[2:3]
	v_cvt_f32_f64_e32 v1, v[4:5]
	v_mov_b32_e32 v3, s2
	v_add_co_u32_e32 v2, vcc, s3, v6
	v_addc_co_u32_e32 v3, vcc, v7, v3, vcc
	global_store_dwordx2 v[2:3], v[0:1], off
.LBB0_18:
	s_endpgm
	.section	.rodata,"a",@progbits
	.p2align	6, 0x0
	.amdhsa_kernel bluestein_single_fwd_len1125_dim1_sp_op_CI_CI
		.amdhsa_group_segment_fixed_size 9000
		.amdhsa_private_segment_fixed_size 0
		.amdhsa_kernarg_size 104
		.amdhsa_user_sgpr_count 6
		.amdhsa_user_sgpr_private_segment_buffer 1
		.amdhsa_user_sgpr_dispatch_ptr 0
		.amdhsa_user_sgpr_queue_ptr 0
		.amdhsa_user_sgpr_kernarg_segment_ptr 1
		.amdhsa_user_sgpr_dispatch_id 0
		.amdhsa_user_sgpr_flat_scratch_init 0
		.amdhsa_user_sgpr_private_segment_size 0
		.amdhsa_uses_dynamic_stack 0
		.amdhsa_system_sgpr_private_segment_wavefront_offset 0
		.amdhsa_system_sgpr_workgroup_id_x 1
		.amdhsa_system_sgpr_workgroup_id_y 0
		.amdhsa_system_sgpr_workgroup_id_z 0
		.amdhsa_system_sgpr_workgroup_info 0
		.amdhsa_system_vgpr_workitem_id 0
		.amdhsa_next_free_vgpr 76
		.amdhsa_next_free_sgpr 20
		.amdhsa_reserve_vcc 1
		.amdhsa_reserve_flat_scratch 0
		.amdhsa_float_round_mode_32 0
		.amdhsa_float_round_mode_16_64 0
		.amdhsa_float_denorm_mode_32 3
		.amdhsa_float_denorm_mode_16_64 3
		.amdhsa_dx10_clamp 1
		.amdhsa_ieee_mode 1
		.amdhsa_fp16_overflow 0
		.amdhsa_exception_fp_ieee_invalid_op 0
		.amdhsa_exception_fp_denorm_src 0
		.amdhsa_exception_fp_ieee_div_zero 0
		.amdhsa_exception_fp_ieee_overflow 0
		.amdhsa_exception_fp_ieee_underflow 0
		.amdhsa_exception_fp_ieee_inexact 0
		.amdhsa_exception_int_div_zero 0
	.end_amdhsa_kernel
	.text
.Lfunc_end0:
	.size	bluestein_single_fwd_len1125_dim1_sp_op_CI_CI, .Lfunc_end0-bluestein_single_fwd_len1125_dim1_sp_op_CI_CI
                                        ; -- End function
	.section	.AMDGPU.csdata,"",@progbits
; Kernel info:
; codeLenInByte = 6108
; NumSgprs: 24
; NumVgprs: 76
; ScratchSize: 0
; MemoryBound: 0
; FloatMode: 240
; IeeeMode: 1
; LDSByteSize: 9000 bytes/workgroup (compile time only)
; SGPRBlocks: 2
; VGPRBlocks: 18
; NumSGPRsForWavesPerEU: 24
; NumVGPRsForWavesPerEU: 76
; Occupancy: 3
; WaveLimiterHint : 1
; COMPUTE_PGM_RSRC2:SCRATCH_EN: 0
; COMPUTE_PGM_RSRC2:USER_SGPR: 6
; COMPUTE_PGM_RSRC2:TRAP_HANDLER: 0
; COMPUTE_PGM_RSRC2:TGID_X_EN: 1
; COMPUTE_PGM_RSRC2:TGID_Y_EN: 0
; COMPUTE_PGM_RSRC2:TGID_Z_EN: 0
; COMPUTE_PGM_RSRC2:TIDIG_COMP_CNT: 0
	.type	__hip_cuid_b735bf6b7292803,@object ; @__hip_cuid_b735bf6b7292803
	.section	.bss,"aw",@nobits
	.globl	__hip_cuid_b735bf6b7292803
__hip_cuid_b735bf6b7292803:
	.byte	0                               ; 0x0
	.size	__hip_cuid_b735bf6b7292803, 1

	.ident	"AMD clang version 19.0.0git (https://github.com/RadeonOpenCompute/llvm-project roc-6.4.0 25133 c7fe45cf4b819c5991fe208aaa96edf142730f1d)"
	.section	".note.GNU-stack","",@progbits
	.addrsig
	.addrsig_sym __hip_cuid_b735bf6b7292803
	.amdgpu_metadata
---
amdhsa.kernels:
  - .args:
      - .actual_access:  read_only
        .address_space:  global
        .offset:         0
        .size:           8
        .value_kind:     global_buffer
      - .actual_access:  read_only
        .address_space:  global
        .offset:         8
        .size:           8
        .value_kind:     global_buffer
      - .actual_access:  read_only
        .address_space:  global
        .offset:         16
        .size:           8
        .value_kind:     global_buffer
      - .actual_access:  read_only
        .address_space:  global
        .offset:         24
        .size:           8
        .value_kind:     global_buffer
      - .actual_access:  read_only
        .address_space:  global
        .offset:         32
        .size:           8
        .value_kind:     global_buffer
      - .offset:         40
        .size:           8
        .value_kind:     by_value
      - .address_space:  global
        .offset:         48
        .size:           8
        .value_kind:     global_buffer
      - .address_space:  global
        .offset:         56
        .size:           8
        .value_kind:     global_buffer
      - .address_space:  global
        .offset:         64
        .size:           8
        .value_kind:     global_buffer
      - .address_space:  global
        .offset:         72
        .size:           8
        .value_kind:     global_buffer
      - .offset:         80
        .size:           4
        .value_kind:     by_value
      - .address_space:  global
        .offset:         88
        .size:           8
        .value_kind:     global_buffer
      - .address_space:  global
        .offset:         96
        .size:           8
        .value_kind:     global_buffer
    .group_segment_fixed_size: 9000
    .kernarg_segment_align: 8
    .kernarg_segment_size: 104
    .language:       OpenCL C
    .language_version:
      - 2
      - 0
    .max_flat_workgroup_size: 225
    .name:           bluestein_single_fwd_len1125_dim1_sp_op_CI_CI
    .private_segment_fixed_size: 0
    .sgpr_count:     24
    .sgpr_spill_count: 0
    .symbol:         bluestein_single_fwd_len1125_dim1_sp_op_CI_CI.kd
    .uniform_work_group_size: 1
    .uses_dynamic_stack: false
    .vgpr_count:     76
    .vgpr_spill_count: 0
    .wavefront_size: 64
amdhsa.target:   amdgcn-amd-amdhsa--gfx906
amdhsa.version:
  - 1
  - 2
...

	.end_amdgpu_metadata
